;; amdgpu-corpus repo=ROCm/rocFFT kind=compiled arch=gfx906 opt=O3
	.text
	.amdgcn_target "amdgcn-amd-amdhsa--gfx906"
	.amdhsa_code_object_version 6
	.protected	fft_rtc_fwd_len396_factors_11_9_4_wgs_44_tpt_44_half_ip_CI_unitstride_sbrr_C2R_dirReg ; -- Begin function fft_rtc_fwd_len396_factors_11_9_4_wgs_44_tpt_44_half_ip_CI_unitstride_sbrr_C2R_dirReg
	.globl	fft_rtc_fwd_len396_factors_11_9_4_wgs_44_tpt_44_half_ip_CI_unitstride_sbrr_C2R_dirReg
	.p2align	8
	.type	fft_rtc_fwd_len396_factors_11_9_4_wgs_44_tpt_44_half_ip_CI_unitstride_sbrr_C2R_dirReg,@function
fft_rtc_fwd_len396_factors_11_9_4_wgs_44_tpt_44_half_ip_CI_unitstride_sbrr_C2R_dirReg: ; @fft_rtc_fwd_len396_factors_11_9_4_wgs_44_tpt_44_half_ip_CI_unitstride_sbrr_C2R_dirReg
; %bb.0:
	s_load_dwordx2 s[2:3], s[4:5], 0x50
	s_load_dwordx4 s[8:11], s[4:5], 0x0
	s_load_dwordx2 s[12:13], s[4:5], 0x18
	v_mul_u32_u24_e32 v1, 0x5d2, v0
	v_add_u32_sdwa v5, s6, v1 dst_sel:DWORD dst_unused:UNUSED_PAD src0_sel:DWORD src1_sel:WORD_1
	v_mov_b32_e32 v3, 0
	s_waitcnt lgkmcnt(0)
	v_cmp_lt_u64_e64 s[0:1], s[10:11], 2
	v_mov_b32_e32 v1, 0
	v_mov_b32_e32 v6, v3
	s_and_b64 vcc, exec, s[0:1]
	v_mov_b32_e32 v2, 0
	s_cbranch_vccnz .LBB0_8
; %bb.1:
	s_load_dwordx2 s[0:1], s[4:5], 0x10
	s_add_u32 s6, s12, 8
	s_addc_u32 s7, s13, 0
	v_mov_b32_e32 v1, 0
	v_mov_b32_e32 v2, 0
	s_waitcnt lgkmcnt(0)
	s_add_u32 s14, s0, 8
	s_addc_u32 s15, s1, 0
	s_mov_b64 s[16:17], 1
.LBB0_2:                                ; =>This Inner Loop Header: Depth=1
	s_load_dwordx2 s[18:19], s[14:15], 0x0
                                        ; implicit-def: $vgpr7_vgpr8
	s_waitcnt lgkmcnt(0)
	v_or_b32_e32 v4, s19, v6
	v_cmp_ne_u64_e32 vcc, 0, v[3:4]
	s_and_saveexec_b64 s[0:1], vcc
	s_xor_b64 s[20:21], exec, s[0:1]
	s_cbranch_execz .LBB0_4
; %bb.3:                                ;   in Loop: Header=BB0_2 Depth=1
	v_cvt_f32_u32_e32 v4, s18
	v_cvt_f32_u32_e32 v7, s19
	s_sub_u32 s0, 0, s18
	s_subb_u32 s1, 0, s19
	v_mac_f32_e32 v4, 0x4f800000, v7
	v_rcp_f32_e32 v4, v4
	v_mul_f32_e32 v4, 0x5f7ffffc, v4
	v_mul_f32_e32 v7, 0x2f800000, v4
	v_trunc_f32_e32 v7, v7
	v_mac_f32_e32 v4, 0xcf800000, v7
	v_cvt_u32_f32_e32 v7, v7
	v_cvt_u32_f32_e32 v4, v4
	v_mul_lo_u32 v8, s0, v7
	v_mul_hi_u32 v9, s0, v4
	v_mul_lo_u32 v11, s1, v4
	v_mul_lo_u32 v10, s0, v4
	v_add_u32_e32 v8, v9, v8
	v_add_u32_e32 v8, v8, v11
	v_mul_hi_u32 v9, v4, v10
	v_mul_lo_u32 v11, v4, v8
	v_mul_hi_u32 v13, v4, v8
	v_mul_hi_u32 v12, v7, v10
	v_mul_lo_u32 v10, v7, v10
	v_mul_hi_u32 v14, v7, v8
	v_add_co_u32_e32 v9, vcc, v9, v11
	v_addc_co_u32_e32 v11, vcc, 0, v13, vcc
	v_mul_lo_u32 v8, v7, v8
	v_add_co_u32_e32 v9, vcc, v9, v10
	v_addc_co_u32_e32 v9, vcc, v11, v12, vcc
	v_addc_co_u32_e32 v10, vcc, 0, v14, vcc
	v_add_co_u32_e32 v8, vcc, v9, v8
	v_addc_co_u32_e32 v9, vcc, 0, v10, vcc
	v_add_co_u32_e32 v4, vcc, v4, v8
	v_addc_co_u32_e32 v7, vcc, v7, v9, vcc
	v_mul_lo_u32 v8, s0, v7
	v_mul_hi_u32 v9, s0, v4
	v_mul_lo_u32 v10, s1, v4
	v_mul_lo_u32 v11, s0, v4
	v_add_u32_e32 v8, v9, v8
	v_add_u32_e32 v8, v8, v10
	v_mul_lo_u32 v12, v4, v8
	v_mul_hi_u32 v13, v4, v11
	v_mul_hi_u32 v14, v4, v8
	;; [unrolled: 1-line block ×3, first 2 shown]
	v_mul_lo_u32 v11, v7, v11
	v_mul_hi_u32 v9, v7, v8
	v_add_co_u32_e32 v12, vcc, v13, v12
	v_addc_co_u32_e32 v13, vcc, 0, v14, vcc
	v_mul_lo_u32 v8, v7, v8
	v_add_co_u32_e32 v11, vcc, v12, v11
	v_addc_co_u32_e32 v10, vcc, v13, v10, vcc
	v_addc_co_u32_e32 v9, vcc, 0, v9, vcc
	v_add_co_u32_e32 v8, vcc, v10, v8
	v_addc_co_u32_e32 v9, vcc, 0, v9, vcc
	v_add_co_u32_e32 v4, vcc, v4, v8
	v_addc_co_u32_e32 v9, vcc, v7, v9, vcc
	v_mad_u64_u32 v[7:8], s[0:1], v5, v9, 0
	v_mul_hi_u32 v10, v5, v4
	v_add_co_u32_e32 v11, vcc, v10, v7
	v_addc_co_u32_e32 v12, vcc, 0, v8, vcc
	v_mad_u64_u32 v[7:8], s[0:1], v6, v4, 0
	v_mad_u64_u32 v[9:10], s[0:1], v6, v9, 0
	v_add_co_u32_e32 v4, vcc, v11, v7
	v_addc_co_u32_e32 v4, vcc, v12, v8, vcc
	v_addc_co_u32_e32 v7, vcc, 0, v10, vcc
	v_add_co_u32_e32 v4, vcc, v4, v9
	v_addc_co_u32_e32 v9, vcc, 0, v7, vcc
	v_mul_lo_u32 v10, s19, v4
	v_mul_lo_u32 v11, s18, v9
	v_mad_u64_u32 v[7:8], s[0:1], s18, v4, 0
	v_add3_u32 v8, v8, v11, v10
	v_sub_u32_e32 v10, v6, v8
	v_mov_b32_e32 v11, s19
	v_sub_co_u32_e32 v7, vcc, v5, v7
	v_subb_co_u32_e64 v10, s[0:1], v10, v11, vcc
	v_subrev_co_u32_e64 v11, s[0:1], s18, v7
	v_subbrev_co_u32_e64 v10, s[0:1], 0, v10, s[0:1]
	v_cmp_le_u32_e64 s[0:1], s19, v10
	v_cndmask_b32_e64 v12, 0, -1, s[0:1]
	v_cmp_le_u32_e64 s[0:1], s18, v11
	v_cndmask_b32_e64 v11, 0, -1, s[0:1]
	v_cmp_eq_u32_e64 s[0:1], s19, v10
	v_cndmask_b32_e64 v10, v12, v11, s[0:1]
	v_add_co_u32_e64 v11, s[0:1], 2, v4
	v_addc_co_u32_e64 v12, s[0:1], 0, v9, s[0:1]
	v_add_co_u32_e64 v13, s[0:1], 1, v4
	v_addc_co_u32_e64 v14, s[0:1], 0, v9, s[0:1]
	v_subb_co_u32_e32 v8, vcc, v6, v8, vcc
	v_cmp_ne_u32_e64 s[0:1], 0, v10
	v_cmp_le_u32_e32 vcc, s19, v8
	v_cndmask_b32_e64 v10, v14, v12, s[0:1]
	v_cndmask_b32_e64 v12, 0, -1, vcc
	v_cmp_le_u32_e32 vcc, s18, v7
	v_cndmask_b32_e64 v7, 0, -1, vcc
	v_cmp_eq_u32_e32 vcc, s19, v8
	v_cndmask_b32_e32 v7, v12, v7, vcc
	v_cmp_ne_u32_e32 vcc, 0, v7
	v_cndmask_b32_e64 v7, v13, v11, s[0:1]
	v_cndmask_b32_e32 v8, v9, v10, vcc
	v_cndmask_b32_e32 v7, v4, v7, vcc
.LBB0_4:                                ;   in Loop: Header=BB0_2 Depth=1
	s_andn2_saveexec_b64 s[0:1], s[20:21]
	s_cbranch_execz .LBB0_6
; %bb.5:                                ;   in Loop: Header=BB0_2 Depth=1
	v_cvt_f32_u32_e32 v4, s18
	s_sub_i32 s20, 0, s18
	v_rcp_iflag_f32_e32 v4, v4
	v_mul_f32_e32 v4, 0x4f7ffffe, v4
	v_cvt_u32_f32_e32 v4, v4
	v_mul_lo_u32 v7, s20, v4
	v_mul_hi_u32 v7, v4, v7
	v_add_u32_e32 v4, v4, v7
	v_mul_hi_u32 v4, v5, v4
	v_mul_lo_u32 v7, v4, s18
	v_add_u32_e32 v8, 1, v4
	v_sub_u32_e32 v7, v5, v7
	v_subrev_u32_e32 v9, s18, v7
	v_cmp_le_u32_e32 vcc, s18, v7
	v_cndmask_b32_e32 v7, v7, v9, vcc
	v_cndmask_b32_e32 v4, v4, v8, vcc
	v_add_u32_e32 v8, 1, v4
	v_cmp_le_u32_e32 vcc, s18, v7
	v_cndmask_b32_e32 v7, v4, v8, vcc
	v_mov_b32_e32 v8, v3
.LBB0_6:                                ;   in Loop: Header=BB0_2 Depth=1
	s_or_b64 exec, exec, s[0:1]
	v_mul_lo_u32 v4, v8, s18
	v_mul_lo_u32 v11, v7, s19
	v_mad_u64_u32 v[9:10], s[0:1], v7, s18, 0
	s_load_dwordx2 s[0:1], s[6:7], 0x0
	s_add_u32 s16, s16, 1
	v_add3_u32 v4, v10, v11, v4
	v_sub_co_u32_e32 v5, vcc, v5, v9
	v_subb_co_u32_e32 v4, vcc, v6, v4, vcc
	s_waitcnt lgkmcnt(0)
	v_mul_lo_u32 v4, s0, v4
	v_mul_lo_u32 v6, s1, v5
	v_mad_u64_u32 v[1:2], s[0:1], s0, v5, v[1:2]
	s_addc_u32 s17, s17, 0
	s_add_u32 s6, s6, 8
	v_add3_u32 v2, v6, v2, v4
	v_mov_b32_e32 v4, s10
	v_mov_b32_e32 v5, s11
	s_addc_u32 s7, s7, 0
	v_cmp_ge_u64_e32 vcc, s[16:17], v[4:5]
	s_add_u32 s14, s14, 8
	s_addc_u32 s15, s15, 0
	s_cbranch_vccnz .LBB0_9
; %bb.7:                                ;   in Loop: Header=BB0_2 Depth=1
	v_mov_b32_e32 v5, v7
	v_mov_b32_e32 v6, v8
	s_branch .LBB0_2
.LBB0_8:
	v_mov_b32_e32 v8, v6
	v_mov_b32_e32 v7, v5
.LBB0_9:
	s_lshl_b64 s[0:1], s[10:11], 3
	s_add_u32 s0, s12, s0
	s_addc_u32 s1, s13, s1
	s_load_dwordx2 s[6:7], s[0:1], 0x0
	s_load_dwordx2 s[10:11], s[4:5], 0x20
	s_waitcnt lgkmcnt(0)
	v_mad_u64_u32 v[1:2], s[0:1], s6, v7, v[1:2]
	v_mul_lo_u32 v3, s6, v8
	v_mul_lo_u32 v4, s7, v7
	s_mov_b32 s0, 0x5d1745e
	v_mul_hi_u32 v5, v0, s0
	v_cmp_gt_u64_e32 vcc, s[10:11], v[7:8]
	v_add3_u32 v2, v4, v2, v3
	v_lshlrev_b64 v[2:3], 2, v[1:2]
	v_mul_u32_u24_e32 v4, 44, v5
	v_sub_u32_e32 v0, v0, v4
	s_and_saveexec_b64 s[4:5], vcc
	s_cbranch_execz .LBB0_13
; %bb.10:
	v_mov_b32_e32 v1, 0
	v_mov_b32_e32 v5, s3
	v_add_co_u32_e64 v4, s[0:1], s2, v2
	v_lshlrev_b64 v[6:7], 2, v[0:1]
	v_addc_co_u32_e64 v5, s[0:1], v5, v3, s[0:1]
	v_add_co_u32_e64 v6, s[0:1], v4, v6
	v_addc_co_u32_e64 v7, s[0:1], v5, v7, s[0:1]
	global_load_dword v8, v[6:7], off
	global_load_dword v9, v[6:7], off offset:176
	global_load_dword v10, v[6:7], off offset:352
	global_load_dword v11, v[6:7], off offset:528
	global_load_dword v12, v[6:7], off offset:704
	global_load_dword v13, v[6:7], off offset:880
	global_load_dword v14, v[6:7], off offset:1056
	global_load_dword v15, v[6:7], off offset:1232
	global_load_dword v16, v[6:7], off offset:1408
	v_lshl_add_u32 v6, v0, 2, 0
	v_cmp_eq_u32_e64 s[0:1], 43, v0
	v_add_u32_e32 v7, 0x400, v6
	s_waitcnt vmcnt(7)
	ds_write2_b32 v6, v8, v9 offset1:44
	s_waitcnt vmcnt(5)
	ds_write2_b32 v6, v10, v11 offset0:88 offset1:132
	s_waitcnt vmcnt(3)
	ds_write2_b32 v6, v12, v13 offset0:176 offset1:220
	;; [unrolled: 2-line block ×3, first 2 shown]
	s_waitcnt vmcnt(0)
	ds_write_b32 v6, v16 offset:1408
	s_and_saveexec_b64 s[6:7], s[0:1]
	s_cbranch_execz .LBB0_12
; %bb.11:
	global_load_dword v0, v[4:5], off offset:1584
	s_waitcnt vmcnt(0)
	ds_write_b32 v1, v0 offset:1584
	v_mov_b32_e32 v0, 43
.LBB0_12:
	s_or_b64 exec, exec, s[6:7]
.LBB0_13:
	s_or_b64 exec, exec, s[4:5]
	v_lshlrev_b32_e32 v1, 2, v0
	v_add_u32_e32 v16, 0, v1
	s_waitcnt lgkmcnt(0)
	; wave barrier
	s_waitcnt lgkmcnt(0)
	v_sub_u32_e32 v6, 0, v1
	ds_read_u16 v9, v16
	ds_read_u16 v10, v6 offset:1584
	v_cmp_ne_u32_e64 s[0:1], 0, v0
                                        ; implicit-def: $vgpr4_vgpr5
	s_waitcnt lgkmcnt(0)
	v_add_f16_e32 v7, v10, v9
	v_sub_f16_e32 v8, v9, v10
	s_and_saveexec_b64 s[4:5], s[0:1]
	s_xor_b64 s[4:5], exec, s[4:5]
	s_cbranch_execz .LBB0_15
; %bb.14:
	v_mov_b32_e32 v1, 0
	v_lshlrev_b64 v[4:5], 2, v[0:1]
	v_mov_b32_e32 v7, s9
	v_add_co_u32_e64 v4, s[0:1], s8, v4
	v_addc_co_u32_e64 v5, s[0:1], v7, v5, s[0:1]
	global_load_dword v4, v[4:5], off offset:1540
	ds_read_u16 v5, v6 offset:1586
	ds_read_u16 v7, v16 offset:2
	v_add_f16_e32 v8, v10, v9
	v_sub_f16_e32 v9, v9, v10
	s_waitcnt lgkmcnt(0)
	v_add_f16_e32 v10, v5, v7
	v_sub_f16_e32 v5, v7, v5
	s_waitcnt vmcnt(0)
	v_lshrrev_b32_e32 v7, 16, v4
	v_fma_f16 v11, v9, v7, v8
	v_fma_f16 v12, v10, v7, v5
	v_fma_f16 v13, -v9, v7, v8
	v_fma_f16 v5, v10, v7, -v5
	v_fma_f16 v7, -v4, v10, v11
	v_fma_f16 v8, v9, v4, v12
	v_fma_f16 v10, v4, v10, v13
	;; [unrolled: 1-line block ×3, first 2 shown]
	v_pack_b32_f16 v4, v10, v4
	ds_write_b32 v6, v4 offset:1584
	v_mov_b32_e32 v5, v1
	v_mov_b32_e32 v4, v0
.LBB0_15:
	s_andn2_saveexec_b64 s[0:1], s[4:5]
	s_cbranch_execz .LBB0_17
; %bb.16:
	v_mov_b32_e32 v1, 0
	ds_read_b32 v4, v1 offset:792
	s_mov_b32 s4, 0xc0004000
	s_waitcnt lgkmcnt(0)
	v_pk_mul_f16 v9, v4, s4
	v_mov_b32_e32 v4, 0
	v_mov_b32_e32 v5, 0
	ds_write_b32 v1, v9 offset:792
.LBB0_17:
	s_or_b64 exec, exec, s[0:1]
	s_add_u32 s0, s8, 0x604
	v_lshlrev_b64 v[4:5], 2, v[4:5]
	s_addc_u32 s1, s9, 0
	v_mov_b32_e32 v1, s1
	v_add_co_u32_e64 v4, s[0:1], s0, v4
	v_addc_co_u32_e64 v5, s[0:1], v1, v5, s[0:1]
	global_load_dword v1, v[4:5], off offset:176
	global_load_dword v9, v[4:5], off offset:352
	;; [unrolled: 1-line block ×3, first 2 shown]
	s_mov_b32 s0, 0x5040100
	v_perm_b32 v7, v8, v7, s0
	ds_write_b32 v16, v7
	ds_read_b32 v7, v16 offset:176
	ds_read_b32 v8, v6 offset:1408
	v_cmp_gt_u32_e64 s[0:1], 22, v0
	s_waitcnt lgkmcnt(0)
	v_add_f16_e32 v11, v7, v8
	v_add_f16_sdwa v12, v8, v7 dst_sel:DWORD dst_unused:UNUSED_PAD src0_sel:WORD_1 src1_sel:WORD_1
	v_sub_f16_e32 v13, v7, v8
	v_sub_f16_sdwa v7, v7, v8 dst_sel:DWORD dst_unused:UNUSED_PAD src0_sel:WORD_1 src1_sel:WORD_1
	s_waitcnt vmcnt(2)
	v_lshrrev_b32_e32 v8, 16, v1
	v_fma_f16 v14, v13, v8, v11
	v_fma_f16 v15, v12, v8, v7
	v_fma_f16 v11, -v13, v8, v11
	v_fma_f16 v7, v12, v8, -v7
	v_fma_f16 v8, -v1, v12, v14
	v_fma_f16 v14, v13, v1, v15
	v_fma_f16 v11, v1, v12, v11
	;; [unrolled: 1-line block ×3, first 2 shown]
	v_pack_b32_f16 v7, v8, v14
	v_pack_b32_f16 v1, v11, v1
	ds_write_b32 v16, v7 offset:176
	ds_write_b32 v6, v1 offset:1408
	ds_read_b32 v1, v16 offset:352
	ds_read_b32 v7, v6 offset:1232
	s_waitcnt vmcnt(1)
	v_lshrrev_b32_e32 v8, 16, v9
	s_waitcnt lgkmcnt(0)
	v_add_f16_e32 v11, v1, v7
	v_add_f16_sdwa v12, v7, v1 dst_sel:DWORD dst_unused:UNUSED_PAD src0_sel:WORD_1 src1_sel:WORD_1
	v_sub_f16_e32 v13, v1, v7
	v_sub_f16_sdwa v1, v1, v7 dst_sel:DWORD dst_unused:UNUSED_PAD src0_sel:WORD_1 src1_sel:WORD_1
	v_fma_f16 v7, v13, v8, v11
	v_fma_f16 v14, v12, v8, v1
	v_fma_f16 v11, -v13, v8, v11
	v_fma_f16 v1, v12, v8, -v1
	v_fma_f16 v7, -v9, v12, v7
	v_fma_f16 v8, v13, v9, v14
	v_fma_f16 v11, v9, v12, v11
	;; [unrolled: 1-line block ×3, first 2 shown]
	v_pack_b32_f16 v7, v7, v8
	v_pack_b32_f16 v1, v11, v1
	ds_write_b32 v16, v7 offset:352
	ds_write_b32 v6, v1 offset:1232
	ds_read_b32 v1, v16 offset:528
	ds_read_b32 v7, v6 offset:1056
	s_waitcnt vmcnt(0)
	v_lshrrev_b32_e32 v8, 16, v10
	s_waitcnt lgkmcnt(0)
	v_add_f16_e32 v9, v1, v7
	v_add_f16_sdwa v11, v7, v1 dst_sel:DWORD dst_unused:UNUSED_PAD src0_sel:WORD_1 src1_sel:WORD_1
	v_sub_f16_e32 v12, v1, v7
	v_sub_f16_sdwa v1, v1, v7 dst_sel:DWORD dst_unused:UNUSED_PAD src0_sel:WORD_1 src1_sel:WORD_1
	v_fma_f16 v7, v12, v8, v9
	v_fma_f16 v13, v11, v8, v1
	v_fma_f16 v9, -v12, v8, v9
	v_fma_f16 v1, v11, v8, -v1
	v_fma_f16 v7, -v10, v11, v7
	v_fma_f16 v8, v12, v10, v13
	v_fma_f16 v9, v10, v11, v9
	;; [unrolled: 1-line block ×3, first 2 shown]
	v_pack_b32_f16 v7, v7, v8
	v_pack_b32_f16 v1, v9, v1
	ds_write_b32 v16, v7 offset:528
	ds_write_b32 v6, v1 offset:1056
	s_and_saveexec_b64 s[4:5], s[0:1]
	s_cbranch_execz .LBB0_19
; %bb.18:
	global_load_dword v1, v[4:5], off offset:704
	ds_read_b32 v4, v16 offset:704
	ds_read_b32 v5, v6 offset:880
	s_waitcnt lgkmcnt(0)
	v_add_f16_e32 v7, v4, v5
	v_add_f16_sdwa v8, v5, v4 dst_sel:DWORD dst_unused:UNUSED_PAD src0_sel:WORD_1 src1_sel:WORD_1
	v_sub_f16_e32 v9, v4, v5
	v_sub_f16_sdwa v4, v4, v5 dst_sel:DWORD dst_unused:UNUSED_PAD src0_sel:WORD_1 src1_sel:WORD_1
	s_waitcnt vmcnt(0)
	v_lshrrev_b32_e32 v5, 16, v1
	v_fma_f16 v10, v9, v5, v7
	v_fma_f16 v11, v8, v5, v4
	v_fma_f16 v7, -v9, v5, v7
	v_fma_f16 v4, v8, v5, -v4
	v_fma_f16 v5, -v1, v8, v10
	v_fma_f16 v10, v9, v1, v11
	v_fma_f16 v7, v1, v8, v7
	;; [unrolled: 1-line block ×3, first 2 shown]
	v_pack_b32_f16 v4, v5, v10
	v_pack_b32_f16 v1, v7, v1
	ds_write_b32 v16, v4 offset:704
	ds_write_b32 v6, v1 offset:880
.LBB0_19:
	s_or_b64 exec, exec, s[4:5]
	v_add_u32_e32 v18, 0x400, v16
	s_waitcnt lgkmcnt(0)
	; wave barrier
	s_waitcnt lgkmcnt(0)
	s_waitcnt lgkmcnt(0)
	; wave barrier
	s_waitcnt lgkmcnt(0)
	ds_read2_b32 v[5:6], v16 offset1:36
	ds_read_b32 v22, v16 offset:1440
	ds_read2_b32 v[10:11], v16 offset0:72 offset1:108
	ds_read2_b32 v[8:9], v18 offset0:32 offset1:68
	s_mov_b32 s15, 0xb853
	s_movk_i32 s6, 0x3abb
	s_waitcnt lgkmcnt(2)
	v_pk_add_f16 v19, v6, v22 neg_lo:[0,1] neg_hi:[0,1]
	v_pk_add_f16 v20, v22, v6
	v_mul_f16_sdwa v26, v19, s15 dst_sel:DWORD dst_unused:UNUSED_PAD src0_sel:WORD_1 src1_sel:DWORD
	s_mov_b32 s18, 0xbb47
	s_waitcnt lgkmcnt(0)
	v_pk_add_f16 v21, v10, v9 neg_lo:[0,1] neg_hi:[0,1]
	ds_read2_b32 v[14:15], v16 offset0:144 offset1:180
	ds_read2_b32 v[12:13], v16 offset0:216 offset1:252
	v_fma_f16 v1, v20, s6, v26
	s_movk_i32 s7, 0x36a6
	v_pk_add_f16 v23, v9, v10
	v_mul_f16_sdwa v28, v21, s18 dst_sel:DWORD dst_unused:UNUSED_PAD src0_sel:WORD_1 src1_sel:DWORD
	v_add_f16_e32 v1, v5, v1
	v_lshrrev_b32_e32 v33, 16, v20
	v_fma_f16 v4, v23, s7, v28
	v_mul_f16_e32 v34, 0xbb47, v19
	v_add_f16_e32 v1, v4, v1
	v_fma_f16 v4, v33, s7, -v34
	s_mov_b32 s11, 0xb93d
	v_lshrrev_b32_e32 v37, 16, v23
	v_mul_f16_e32 v36, 0xba0c, v21
	s_mov_b32 s10, 0xbbeb
	v_pk_add_f16 v24, v11, v8 neg_lo:[0,1] neg_hi:[0,1]
	v_add_f16_sdwa v4, v5, v4 dst_sel:DWORD dst_unused:UNUSED_PAD src0_sel:WORD_1 src1_sel:DWORD
	v_fma_f16 v7, v37, s11, -v36
	s_mov_b32 s12, 0xb08e
	v_pk_add_f16 v25, v8, v11
	v_mul_f16_sdwa v32, v24, s10 dst_sel:DWORD dst_unused:UNUSED_PAD src0_sel:WORD_1 src1_sel:DWORD
	v_add_f16_e32 v4, v7, v4
	v_fma_f16 v7, v25, s12, v32
	s_mov_b32 s14, 0xbbad
	v_lshrrev_b32_e32 v38, 16, v25
	v_mul_f16_e32 v39, 0x3482, v24
	s_mov_b32 s13, 0xba0c
	s_waitcnt lgkmcnt(0)
	v_pk_add_f16 v27, v14, v13 neg_lo:[0,1] neg_hi:[0,1]
	v_add_f16_e32 v1, v7, v1
	v_fma_f16 v7, v38, s14, -v39
	v_pk_add_f16 v29, v13, v14
	v_mul_f16_sdwa v35, v27, s13 dst_sel:DWORD dst_unused:UNUSED_PAD src0_sel:WORD_1 src1_sel:DWORD
	v_add_f16_e32 v4, v7, v4
	v_fma_f16 v7, v29, s11, v35
	v_lshrrev_b32_e32 v40, 16, v29
	v_mul_f16_e32 v41, 0x3beb, v27
	v_pk_add_f16 v31, v12, v15
	v_pk_add_f16 v30, v15, v12 neg_lo:[0,1] neg_hi:[0,1]
	v_add_f16_e32 v7, v7, v1
	v_fma_f16 v1, v40, s12, -v41
	v_lshrrev_b32_e32 v42, 16, v31
	v_mul_f16_e32 v43, 0x3853, v30
	v_add_f16_e32 v1, v1, v4
	v_fma_f16 v4, v42, s6, -v43
	s_mov_b32 s0, 0x3abb36a6
	v_add_f16_e32 v1, v4, v1
	s_mov_b32 s1, 0xbb47b853
	v_pk_mul_f16 v4, v20, s0
	s_mov_b32 s0, 0x36a6b93d
	v_pk_fma_f16 v44, v19, s1, v4 op_sel:[0,0,1] op_sel_hi:[1,1,0] neg_lo:[1,0,0] neg_hi:[1,0,0]
	v_pk_fma_f16 v46, v19, s1, v4 op_sel:[0,0,1] op_sel_hi:[1,1,0]
	s_mov_b32 s1, 0xba0cbb47
	v_pk_mul_f16 v4, v23, s0
	s_mov_b32 s0, 0xb08ebbad
	v_pk_fma_f16 v47, v21, s1, v4 op_sel:[0,0,1] op_sel_hi:[1,1,0] neg_lo:[1,0,0] neg_hi:[1,0,0]
	v_pk_fma_f16 v48, v21, s1, v4 op_sel:[0,0,1] op_sel_hi:[1,1,0]
	s_mov_b32 s1, 0x3482bbeb
	v_pk_mul_f16 v4, v25, s0
	s_mov_b32 s0, 0xb93db08e
	s_mov_b32 s16, 0xb482
	v_pk_fma_f16 v49, v24, s1, v4 op_sel:[0,0,1] op_sel_hi:[1,1,0] neg_lo:[1,0,0] neg_hi:[1,0,0]
	v_pk_fma_f16 v50, v24, s1, v4 op_sel:[0,0,1] op_sel_hi:[1,1,0]
	s_mov_b32 s1, 0x3bebba0c
	v_pk_mul_f16 v4, v29, s0
	v_mul_f16_sdwa v45, v30, s16 dst_sel:DWORD dst_unused:UNUSED_PAD src0_sel:WORD_1 src1_sel:DWORD
	v_pk_fma_f16 v51, v27, s1, v4 op_sel:[0,0,1] op_sel_hi:[1,1,0] neg_lo:[1,0,0] neg_hi:[1,0,0]
	v_pk_fma_f16 v52, v27, s1, v4 op_sel:[0,0,1] op_sel_hi:[1,1,0]
	v_fma_f16 v4, v31, s14, v45
	v_add_f16_e32 v4, v4, v7
	v_add_f16_sdwa v7, v5, v44 dst_sel:DWORD dst_unused:UNUSED_PAD src0_sel:WORD_1 src1_sel:DWORD
	s_mov_b32 s0, 0xbbad3abb
	v_add_f16_e32 v7, v47, v7
	s_mov_b32 s1, 0x3853b482
	v_add_f16_e32 v7, v49, v7
	v_pk_mul_f16 v54, v31, s0
	v_add_f16_e32 v7, v51, v7
	v_pk_fma_f16 v53, v30, s1, v54 op_sel:[0,0,1] op_sel_hi:[1,1,0] neg_lo:[1,0,0] neg_hi:[1,0,0]
	v_add_f16_e32 v17, v53, v7
	v_add_f16_sdwa v7, v5, v46 dst_sel:DWORD dst_unused:UNUSED_PAD src0_sel:DWORD src1_sel:WORD_1
	v_add_f16_sdwa v7, v48, v7 dst_sel:DWORD dst_unused:UNUSED_PAD src0_sel:WORD_1 src1_sel:DWORD
	v_add_f16_sdwa v7, v50, v7 dst_sel:DWORD dst_unused:UNUSED_PAD src0_sel:WORD_1 src1_sel:DWORD
	v_pk_fma_f16 v54, v30, s1, v54 op_sel:[0,0,1] op_sel_hi:[1,1,0]
	v_add_f16_sdwa v7, v52, v7 dst_sel:DWORD dst_unused:UNUSED_PAD src0_sel:WORD_1 src1_sel:DWORD
	s_movk_i32 s19, 0x3482
	s_movk_i32 s20, 0x3beb
	;; [unrolled: 1-line block ×3, first 2 shown]
	v_cmp_gt_u32_e64 s[0:1], 36, v0
	v_add_f16_sdwa v7, v54, v7 dst_sel:DWORD dst_unused:UNUSED_PAD src0_sel:WORD_1 src1_sel:DWORD
	s_waitcnt lgkmcnt(0)
	; wave barrier
	s_and_saveexec_b64 s[4:5], s[0:1]
	s_cbranch_execz .LBB0_21
; %bb.20:
	v_mul_f16_e32 v55, 0xb08e, v33
	v_fma_f16 v56, v19, s20, v55
	v_mul_f16_e32 v57, 0xbbad, v37
	v_add_f16_sdwa v56, v5, v56 dst_sel:DWORD dst_unused:UNUSED_PAD src0_sel:WORD_1 src1_sel:DWORD
	v_fma_f16 v58, v21, s16, v57
	v_add_f16_e32 v56, v58, v56
	v_mul_f16_e32 v58, 0x36a6, v38
	v_fma_f16 v59, v24, s18, v58
	v_add_f16_e32 v56, v59, v56
	v_mul_f16_e32 v59, 0x3abb, v40
	v_fma_f16 v60, v27, s17, v59
	v_add_f16_e32 v56, v60, v56
	s_movk_i32 s0, 0x3a0c
	v_mul_f16_e32 v60, 0xb93d, v42
	v_fma_f16 v61, v30, s0, v60
	v_add_f16_e32 v56, v61, v56
	v_mul_f16_sdwa v61, v19, s10 dst_sel:DWORD dst_unused:UNUSED_PAD src0_sel:WORD_1 src1_sel:DWORD
	v_fma_f16 v62, v20, s12, v61
	v_mul_f16_sdwa v63, v21, s19 dst_sel:DWORD dst_unused:UNUSED_PAD src0_sel:WORD_1 src1_sel:DWORD
	v_add_f16_e32 v62, v5, v62
	v_fma_f16 v64, v23, s14, v63
	s_movk_i32 s1, 0x3b47
	v_add_f16_e32 v62, v64, v62
	v_mul_f16_sdwa v64, v24, s1 dst_sel:DWORD dst_unused:UNUSED_PAD src0_sel:WORD_1 src1_sel:DWORD
	v_fma_f16 v65, v25, s7, v64
	v_add_f16_e32 v62, v65, v62
	v_mul_f16_sdwa v65, v27, s15 dst_sel:DWORD dst_unused:UNUSED_PAD src0_sel:WORD_1 src1_sel:DWORD
	v_fma_f16 v66, v29, s6, v65
	;; [unrolled: 3-line block ×3, first 2 shown]
	v_add_f16_e32 v62, v67, v62
	v_mul_f16_e32 v67, 0xb93d, v33
	v_mul_f16_e32 v33, 0x36a6, v33
	v_fma_f16 v68, v19, s0, v67
	v_mul_f16_e32 v69, 0xb08e, v37
	v_add_f16_e32 v33, v34, v33
	v_mul_f16_e32 v34, 0xb93d, v37
	v_add_f16_sdwa v68, v5, v68 dst_sel:DWORD dst_unused:UNUSED_PAD src0_sel:WORD_1 src1_sel:DWORD
	v_fma_f16 v70, v21, s10, v69
	v_add_f16_e32 v34, v36, v34
	v_add_f16_sdwa v33, v5, v33 dst_sel:DWORD dst_unused:UNUSED_PAD src0_sel:WORD_1 src1_sel:DWORD
	v_add_f16_e32 v68, v70, v68
	v_mul_f16_e32 v70, 0x3abb, v38
	v_add_f16_e32 v33, v34, v33
	v_mul_f16_e32 v34, 0xbbad, v38
	v_pk_add_f16 v6, v5, v6
	v_fma_f16 v71, v24, s17, v70
	v_add_f16_e32 v34, v39, v34
	v_pk_add_f16 v6, v6, v10
	v_add_f16_e32 v68, v71, v68
	v_mul_f16_e32 v71, 0xbbad, v40
	v_add_f16_e32 v33, v34, v33
	v_mul_f16_e32 v34, 0xb08e, v40
	v_pk_add_f16 v6, v6, v11
	v_fma_f16 v72, v27, s19, v71
	v_add_f16_e32 v34, v41, v34
	v_mul_f16_e32 v37, 0x3abb, v20
	v_pk_add_f16 v6, v6, v14
	v_add_f16_e32 v68, v72, v68
	v_mul_f16_e32 v72, 0x36a6, v42
	v_add_f16_e32 v33, v34, v33
	v_mul_f16_e32 v34, 0x3abb, v42
	v_mul_f16_e32 v41, 0x36a6, v23
	v_sub_f16_e32 v26, v37, v26
	v_pk_add_f16 v6, v6, v15
	v_fma_f16 v73, v30, s18, v72
	v_fma_f16 v67, v19, s13, v67
	;; [unrolled: 1-line block ×3, first 2 shown]
	v_add_f16_e32 v34, v43, v34
	v_mul_f16_e32 v43, 0xb08e, v25
	v_sub_f16_e32 v28, v41, v28
	v_add_f16_e32 v26, v5, v26
	v_pk_add_f16 v6, v6, v12
	v_add_f16_e32 v68, v73, v68
	v_mul_f16_sdwa v73, v19, s13 dst_sel:DWORD dst_unused:UNUSED_PAD src0_sel:WORD_1 src1_sel:DWORD
	v_add_f16_sdwa v67, v5, v67 dst_sel:DWORD dst_unused:UNUSED_PAD src0_sel:WORD_1 src1_sel:DWORD
	v_fma_f16 v69, v21, s20, v69
	v_add_f16_sdwa v55, v5, v55 dst_sel:DWORD dst_unused:UNUSED_PAD src0_sel:WORD_1 src1_sel:DWORD
	v_fma_f16 v57, v21, s19, v57
	v_mul_f16_e32 v37, 0xb93d, v29
	v_add_f16_e32 v26, v28, v26
	v_sub_f16_e32 v28, v43, v32
	v_pk_add_f16 v6, v6, v13
	v_fma_f16 v74, v20, s11, v73
	v_mul_f16_sdwa v75, v21, s20 dst_sel:DWORD dst_unused:UNUSED_PAD src0_sel:WORD_1 src1_sel:DWORD
	v_add_f16_e32 v67, v69, v67
	v_fma_f16 v69, v24, s15, v70
	v_add_f16_e32 v55, v57, v55
	v_fma_f16 v57, v24, s1, v58
	v_mul_f16_e32 v41, 0xbbad, v31
	v_add_f16_e32 v26, v28, v26
	v_sub_f16_e32 v28, v37, v35
	v_pk_add_f16 v6, v6, v8
	v_add_f16_e32 v74, v5, v74
	v_fma_f16 v76, v23, s12, v75
	v_add_f16_e32 v67, v69, v67
	v_fma_f16 v69, v27, s16, v71
	;; [unrolled: 2-line block ×3, first 2 shown]
	s_mov_b32 s0, 0xffff
	v_add_f16_e32 v26, v28, v26
	v_sub_f16_e32 v28, v41, v45
	v_pk_add_f16 v6, v6, v9
	v_add_f16_e32 v74, v76, v74
	v_mul_f16_sdwa v76, v24, s15 dst_sel:DWORD dst_unused:UNUSED_PAD src0_sel:WORD_1 src1_sel:DWORD
	v_add_f16_e32 v67, v69, v67
	v_fma_f16 v69, v30, s1, v72
	v_add_f16_e32 v55, v57, v55
	v_fma_f16 v57, v30, s13, v60
	v_add_f16_e32 v33, v34, v33
	v_bfi_b32 v34, s0, v46, v44
	v_add_f16_e32 v26, v28, v26
	v_mad_u32_u24 v28, v0, 40, v16
	v_pk_add_f16 v6, v6, v22
	v_fma_f16 v77, v25, s6, v76
	v_add_f16_e32 v67, v69, v67
	v_fma_f16 v69, v20, s11, -v73
	v_add_f16_e32 v55, v57, v55
	v_fma_f16 v57, v20, s12, -v61
	v_bfi_b32 v36, s0, v48, v47
	ds_write_b32 v28, v6
	v_pk_add_f16 v6, v5, v34 op_sel:[1,0] op_sel_hi:[0,1]
	v_add_f16_e32 v74, v77, v74
	v_mul_f16_sdwa v77, v27, s16 dst_sel:DWORD dst_unused:UNUSED_PAD src0_sel:WORD_1 src1_sel:DWORD
	v_add_f16_e32 v69, v5, v69
	v_fma_f16 v70, v23, s12, -v75
	v_add_f16_e32 v57, v5, v57
	v_fma_f16 v58, v23, s14, -v63
	v_bfi_b32 v38, s0, v50, v49
	v_pk_add_f16 v6, v36, v6
	v_fma_f16 v78, v29, s14, v77
	v_add_f16_e32 v69, v70, v69
	v_fma_f16 v70, v25, s6, -v76
	v_add_f16_e32 v57, v58, v57
	v_fma_f16 v58, v25, s7, -v64
	v_bfi_b32 v40, s0, v52, v51
	v_pk_add_f16 v6, v38, v6
	v_add_f16_e32 v74, v78, v74
	v_mul_f16_sdwa v78, v30, s1 dst_sel:DWORD dst_unused:UNUSED_PAD src0_sel:WORD_1 src1_sel:DWORD
	v_add_f16_e32 v69, v70, v69
	v_fma_f16 v70, v29, s14, -v77
	v_add_f16_e32 v57, v58, v57
	v_fma_f16 v58, v29, s6, -v65
	v_bfi_b32 v42, s0, v54, v53
	v_pk_add_f16 v6, v40, v6
	v_add_f16_e32 v69, v70, v69
	v_fma_f16 v70, v31, s7, -v78
	v_add_f16_e32 v57, v58, v57
	v_fma_f16 v58, v31, s11, -v66
	v_pk_add_f16 v6, v42, v6
	v_add_f16_e32 v69, v70, v69
	v_add_f16_e32 v57, v58, v57
	v_alignbit_b32 v8, v33, v6, 16
	v_pack_b32_f16 v6, v26, v6
	ds_write2_b32 v28, v6, v8 offset0:1 offset1:2
	v_pack_b32_f16 v6, v69, v67
	v_pack_b32_f16 v8, v57, v55
	ds_write2_b32 v28, v8, v6 offset0:3 offset1:4
	v_pk_mul_f16 v6, v20, s14 op_sel_hi:[1,0]
	v_alignbit_b32 v39, s0, v5, 16
	v_pk_fma_f16 v8, v19, s16, v6 op_sel:[0,0,1] op_sel_hi:[1,0,0] neg_lo:[1,0,0] neg_hi:[1,0,0]
	v_pk_mul_f16 v10, v23, s6 op_sel_hi:[1,0]
	v_pk_add_f16 v9, v39, v8
	v_pk_fma_f16 v11, v21, s17, v10 op_sel:[0,0,1] op_sel_hi:[1,0,0] neg_lo:[1,0,0] neg_hi:[1,0,0]
	v_pk_mul_f16 v12, v25, s11 op_sel_hi:[1,0]
	v_pk_fma_f16 v6, v19, s16, v6 op_sel:[0,0,1] op_sel_hi:[1,0,0]
	v_alignbit_b32 v8, s0, v8, 16
	v_pk_fma_f16 v13, v24, s13, v12 op_sel:[0,0,1] op_sel_hi:[1,0,0] neg_lo:[1,0,0] neg_hi:[1,0,0]
	v_pk_mul_f16 v14, v29, s7 op_sel_hi:[1,0]
	v_pk_add_f16 v6, v5, v6 op_sel:[1,0] op_sel_hi:[0,1]
	v_pk_fma_f16 v10, v21, s17, v10 op_sel:[0,0,1] op_sel_hi:[1,0,0]
	v_pk_add_f16 v5, v5, v8
	v_alignbit_b32 v8, s0, v11, 16
	v_pk_add_f16 v9, v11, v9
	v_pk_fma_f16 v15, v27, s1, v14 op_sel:[0,0,1] op_sel_hi:[1,0,0] neg_lo:[1,0,0] neg_hi:[1,0,0]
	v_pk_mul_f16 v20, v31, s12 op_sel_hi:[1,0]
	v_pk_add_f16 v6, v10, v6
	v_pk_fma_f16 v10, v24, s13, v12 op_sel:[0,0,1] op_sel_hi:[1,0,0]
	v_pk_add_f16 v5, v8, v5
	v_alignbit_b32 v8, s0, v13, 16
	v_pk_add_f16 v9, v13, v9
	v_pk_fma_f16 v22, v30, s10, v20 op_sel:[0,0,1] op_sel_hi:[1,0,0] neg_lo:[1,0,0] neg_hi:[1,0,0]
	v_pk_add_f16 v6, v10, v6
	v_pk_fma_f16 v10, v27, s1, v14 op_sel:[0,0,1] op_sel_hi:[1,0,0]
	v_pk_add_f16 v5, v8, v5
	v_alignbit_b32 v8, s0, v15, 16
	v_pk_add_f16 v9, v15, v9
	v_pk_add_f16 v6, v10, v6
	v_pk_fma_f16 v10, v30, s10, v20 op_sel:[0,0,1] op_sel_hi:[1,0,0]
	v_pk_add_f16 v5, v8, v5
	v_alignbit_b32 v8, s0, v22, 16
	v_fma_f16 v79, v31, s7, v78
	v_pk_add_f16 v9, v22, v9
	v_pk_add_f16 v6, v10, v6
	v_pk_add_f16 v5, v8, v5
	v_add_f16_e32 v74, v79, v74
	v_alignbit_b32 v8, v9, v6, 16
	v_pack_b32_f16 v5, v5, v6
	ds_write2_b32 v28, v5, v8 offset0:5 offset1:6
	v_pack_b32_f16 v5, v62, v56
	v_pack_b32_f16 v6, v74, v68
	s_mov_b32 s0, 0x5040100
	ds_write2_b32 v28, v6, v5 offset0:7 offset1:8
	v_perm_b32 v5, v17, v4, s0
	v_perm_b32 v6, v1, v7, s0
	ds_write2_b32 v28, v6, v5 offset0:9 offset1:10
.LBB0_21:
	s_or_b64 exec, exec, s[4:5]
	s_movk_i32 s0, 0x75
	v_mul_lo_u16_sdwa v5, v0, s0 dst_sel:DWORD dst_unused:UNUSED_PAD src0_sel:BYTE_0 src1_sel:DWORD
	v_sub_u16_sdwa v6, v0, v5 dst_sel:DWORD dst_unused:UNUSED_PAD src0_sel:DWORD src1_sel:BYTE_1
	v_lshrrev_b16_e32 v6, 1, v6
	v_and_b32_e32 v6, 0x7f, v6
	v_add_u16_sdwa v5, v6, v5 dst_sel:DWORD dst_unused:UNUSED_PAD src0_sel:DWORD src1_sel:BYTE_1
	v_lshrrev_b16_e32 v25, 3, v5
	v_mul_lo_u16_e32 v5, 11, v25
	v_sub_u16_e32 v26, v0, v5
	v_mov_b32_e32 v5, 5
	v_lshlrev_b32_sdwa v5, v5, v26 dst_sel:DWORD dst_unused:UNUSED_PAD src0_sel:DWORD src1_sel:BYTE_0
	s_waitcnt lgkmcnt(0)
	; wave barrier
	s_waitcnt lgkmcnt(0)
	global_load_dwordx4 v[8:11], v5, s[8:9]
	global_load_dwordx4 v[12:15], v5, s[8:9] offset:16
	ds_read2_b32 v[5:6], v16 offset1:44
	ds_read2_b32 v[19:20], v16 offset0:88 offset1:132
	ds_read2_b32 v[21:22], v16 offset0:176 offset1:220
	;; [unrolled: 1-line block ×3, first 2 shown]
	ds_read_b32 v27, v16 offset:1408
	s_waitcnt lgkmcnt(4)
	v_lshrrev_b32_e32 v31, 16, v6
	s_waitcnt lgkmcnt(3)
	v_lshrrev_b32_e32 v32, 16, v19
	v_lshrrev_b32_e32 v33, 16, v20
	s_waitcnt lgkmcnt(1)
	v_lshrrev_b32_e32 v28, 16, v23
	s_waitcnt lgkmcnt(0)
	v_lshrrev_b32_e32 v30, 16, v27
	v_lshrrev_b32_e32 v29, 16, v24
	;; [unrolled: 1-line block ×4, first 2 shown]
	s_movk_i32 s5, 0x3a21
	v_lshrrev_b32_e32 v36, 16, v5
	s_movk_i32 s0, 0x3be1
	s_movk_i32 s6, 0x318f
	;; [unrolled: 1-line block ×4, first 2 shown]
	s_mov_b32 s7, 0xbb84
	s_mov_b32 s10, 0xb924
	s_waitcnt lgkmcnt(0)
	; wave barrier
	s_waitcnt vmcnt(1)
	v_mul_f16_sdwa v37, v8, v31 dst_sel:DWORD dst_unused:UNUSED_PAD src0_sel:WORD_1 src1_sel:DWORD
	v_mul_f16_sdwa v38, v8, v6 dst_sel:DWORD dst_unused:UNUSED_PAD src0_sel:WORD_1 src1_sel:DWORD
	s_waitcnt vmcnt(0)
	v_mul_f16_sdwa v51, v30, v15 dst_sel:DWORD dst_unused:UNUSED_PAD src0_sel:DWORD src1_sel:WORD_1
	v_mul_f16_sdwa v52, v27, v15 dst_sel:DWORD dst_unused:UNUSED_PAD src0_sel:DWORD src1_sel:WORD_1
	v_mul_f16_sdwa v39, v9, v32 dst_sel:DWORD dst_unused:UNUSED_PAD src0_sel:WORD_1 src1_sel:DWORD
	v_mul_f16_sdwa v40, v9, v19 dst_sel:DWORD dst_unused:UNUSED_PAD src0_sel:WORD_1 src1_sel:DWORD
	v_mul_f16_sdwa v47, v28, v13 dst_sel:DWORD dst_unused:UNUSED_PAD src0_sel:DWORD src1_sel:WORD_1
	v_mul_f16_sdwa v48, v23, v13 dst_sel:DWORD dst_unused:UNUSED_PAD src0_sel:DWORD src1_sel:WORD_1
	;; [unrolled: 1-line block ×4, first 2 shown]
	v_fma_f16 v6, v8, v6, -v37
	v_fma_f16 v8, v8, v31, v38
	v_fma_f16 v27, v27, v15, -v51
	v_fma_f16 v15, v30, v15, v52
	v_mul_f16_sdwa v41, v10, v33 dst_sel:DWORD dst_unused:UNUSED_PAD src0_sel:WORD_1 src1_sel:DWORD
	v_mul_f16_sdwa v42, v10, v20 dst_sel:DWORD dst_unused:UNUSED_PAD src0_sel:WORD_1 src1_sel:DWORD
	;; [unrolled: 1-line block ×6, first 2 shown]
	v_fma_f16 v19, v9, v19, -v39
	v_fma_f16 v9, v9, v32, v40
	v_fma_f16 v23, v23, v13, -v47
	v_fma_f16 v13, v28, v13, v48
	;; [unrolled: 2-line block ×3, first 2 shown]
	v_add_f16_e32 v28, v6, v27
	v_add_f16_e32 v29, v8, v15
	v_sub_f16_e32 v27, v6, v27
	v_sub_f16_e32 v8, v8, v15
	v_fma_f16 v20, v10, v20, -v41
	v_fma_f16 v10, v10, v33, v42
	v_fma_f16 v21, v11, v21, -v43
	v_fma_f16 v11, v11, v34, v44
	;; [unrolled: 2-line block ×3, first 2 shown]
	v_add_f16_e32 v30, v19, v24
	v_add_f16_e32 v31, v9, v14
	v_sub_f16_e32 v15, v19, v24
	v_sub_f16_e32 v9, v9, v14
	v_mul_f16_e32 v6, 0x3924, v27
	v_mul_f16_e32 v19, 0x3924, v8
	v_fma_f16 v34, v28, s5, v5
	v_fma_f16 v35, v29, s5, v36
	v_add_f16_e32 v32, v20, v23
	v_add_f16_e32 v33, v10, v13
	v_sub_f16_e32 v14, v20, v23
	v_sub_f16_e32 v10, v10, v13
	v_fma_f16 v6, v15, s0, v6
	v_fma_f16 v19, v9, s0, v19
	v_fma_f16 v34, v30, s6, v34
	v_fma_f16 v35, v31, s6, v35
	v_sub_f16_e32 v13, v21, v22
	v_sub_f16_e32 v20, v11, v12
	v_add_f16_e32 v23, v21, v22
	v_add_f16_e32 v24, v11, v12
	v_fma_f16 v6, v14, s1, v6
	v_fma_f16 v19, v10, s1, v19
	v_fma_f16 v34, v32, -0.5, v34
	v_fma_f16 v35, v33, -0.5, v35
	v_fma_f16 v37, v13, s4, v6
	v_fma_f16 v6, v20, s4, v19
	;; [unrolled: 1-line block ×4, first 2 shown]
	v_sub_f16_e32 v34, v34, v37
	v_add_f16_e32 v35, v6, v19
	v_fma_f16 v19, v37, 2.0, v34
	v_mul_f16_e32 v37, 0xb924, v13
	v_mul_f16_e32 v38, 0xb924, v20
	v_fma_f16 v37, v27, s0, v37
	v_fma_f16 v38, v8, s0, v38
	s_mov_b32 s0, 0xbaee
	v_fma_f16 v38, v10, s0, v38
	v_add_f16_e32 v42, v20, v8
	v_mul_f16_e32 v20, 0x3be1, v20
	v_fma_f16 v38, v9, s4, v38
	v_add_f16_e32 v41, v13, v27
	v_sub_f16_e32 v42, v42, v9
	v_mul_f16_e32 v13, 0x3be1, v13
	v_fma_f16 v9, v9, s10, -v20
	v_add_f16_e32 v47, v30, v28
	v_fma_f16 v13, v15, s10, -v13
	v_fma_f16 v9, v10, s1, v9
	v_add_f16_e32 v48, v31, v29
	v_fma_f16 v13, v14, s1, v13
	v_fma_f16 v8, v8, s4, v9
	v_add_f16_e32 v9, v32, v47
	v_fma_f16 v10, v27, s4, v13
	v_add_f16_e32 v13, v33, v48
	v_add_f16_e32 v9, v21, v9
	;; [unrolled: 1-line block ×4, first 2 shown]
	v_fma_f16 v39, v23, s5, v5
	v_add_f16_e32 v45, v32, v5
	v_add_f16_e32 v11, v12, v11
	;; [unrolled: 1-line block ×3, first 2 shown]
	v_fma_f16 v5, v30, s5, v5
	v_fma_f16 v12, v31, s5, v36
	;; [unrolled: 1-line block ×7, first 2 shown]
	v_fma_f16 v5, v32, -0.5, v5
	v_fma_f16 v12, v33, -0.5, v12
	v_fma_f16 v37, v14, s0, v37
	v_fma_f16 v39, v32, -0.5, v39
	v_fma_f16 v40, v33, -0.5, v40
	v_add_f16_e32 v46, v33, v36
	v_add_f16_e32 v49, v23, v47
	;; [unrolled: 1-line block ×3, first 2 shown]
	v_fma_f16 v5, v28, s7, v5
	v_fma_f16 v12, v29, s7, v12
	;; [unrolled: 1-line block ×5, first 2 shown]
	v_sub_f16_e32 v41, v41, v15
	v_fma_f16 v45, v49, -0.5, v45
	v_fma_f16 v46, v50, -0.5, v46
	v_add_f16_e32 v5, v8, v5
	v_sub_f16_e32 v12, v12, v10
	v_mov_b32_e32 v14, 2
	v_add_f16_e32 v39, v38, v39
	v_sub_f16_e32 v40, v40, v37
	v_mul_f16_e32 v43, 0x3aee, v41
	v_mul_f16_e32 v44, 0x3aee, v42
	v_fma_f16 v42, v42, s1, v45
	v_fma_f16 v41, v41, s0, v46
	v_fma_f16 v8, v8, -2.0, v5
	v_fma_f16 v10, v10, 2.0, v12
	v_mul_u32_u24_e32 v13, 0x18c, v25
	v_lshlrev_b32_sdwa v14, v14, v26 dst_sel:DWORD dst_unused:UNUSED_PAD src0_sel:DWORD src1_sel:BYTE_0
	v_fma_f16 v38, v38, -2.0, v39
	v_fma_f16 v37, v37, 2.0, v40
	v_fma_f16 v44, v44, -2.0, v42
	v_fma_f16 v43, v43, 2.0, v41
	v_add_f16_e32 v11, v36, v11
	v_add3_u32 v13, 0, v13, v14
	v_pack_b32_f16 v5, v5, v12
	v_pack_b32_f16 v8, v8, v10
	v_fma_f16 v6, v6, -2.0, v35
	v_pack_b32_f16 v9, v9, v11
	v_pack_b32_f16 v11, v35, v34
	ds_write2_b32 v13, v5, v8 offset0:44 offset1:55
	v_pack_b32_f16 v5, v44, v43
	v_pack_b32_f16 v8, v38, v37
	ds_write2_b32 v13, v9, v11 offset1:11
	v_pack_b32_f16 v9, v39, v40
	v_pack_b32_f16 v11, v42, v41
	ds_write2_b32 v13, v5, v8 offset0:66 offset1:77
	v_pack_b32_f16 v5, v6, v19
	ds_write2_b32 v13, v9, v11 offset0:22 offset1:33
	ds_write_b32 v13, v5 offset:352
	s_waitcnt lgkmcnt(0)
	; wave barrier
	s_waitcnt lgkmcnt(0)
	ds_read2_b32 v[8:9], v16 offset1:44
	ds_read2_b32 v[10:11], v16 offset0:99 offset1:143
	ds_read2_b32 v[12:13], v16 offset0:198 offset1:242
	;; [unrolled: 1-line block ×3, first 2 shown]
	v_cmp_gt_u32_e64 s[0:1], 11, v0
                                        ; implicit-def: $vgpr18
	s_and_saveexec_b64 s[4:5], s[0:1]
	s_cbranch_execz .LBB0_23
; %bb.22:
	v_add_u32_e32 v1, 0x400, v16
	ds_read2_b32 v[6:7], v16 offset0:88 offset1:187
	ds_read2_b32 v[4:5], v1 offset0:30 offset1:129
	s_waitcnt lgkmcnt(1)
	v_lshrrev_b32_e32 v19, 16, v6
	s_waitcnt lgkmcnt(0)
	v_lshrrev_b32_e32 v17, 16, v4
	v_lshrrev_b32_e32 v18, 16, v5
	;; [unrolled: 1-line block ×3, first 2 shown]
.LBB0_23:
	s_or_b64 exec, exec, s[4:5]
	v_mul_u32_u24_e32 v20, 3, v0
	v_lshlrev_b32_e32 v20, 2, v20
	global_load_dwordx3 v[21:23], v20, s[8:9] offset:352
	global_load_dwordx3 v[24:26], v20, s[8:9] offset:880
	s_waitcnt lgkmcnt(0)
	v_lshrrev_b32_e32 v29, 16, v15
	v_lshrrev_b32_e32 v30, 16, v13
	;; [unrolled: 1-line block ×8, first 2 shown]
	v_add_u32_e32 v20, 0x400, v16
	s_waitcnt lgkmcnt(0)
	; wave barrier
	s_waitcnt vmcnt(1)
	v_mul_f16_sdwa v35, v21, v34 dst_sel:DWORD dst_unused:UNUSED_PAD src0_sel:WORD_1 src1_sel:DWORD
	v_mul_f16_sdwa v36, v21, v10 dst_sel:DWORD dst_unused:UNUSED_PAD src0_sel:WORD_1 src1_sel:DWORD
	;; [unrolled: 1-line block ×6, first 2 shown]
	s_waitcnt vmcnt(0)
	v_mul_f16_sdwa v41, v24, v31 dst_sel:DWORD dst_unused:UNUSED_PAD src0_sel:WORD_1 src1_sel:DWORD
	v_mul_f16_sdwa v42, v24, v11 dst_sel:DWORD dst_unused:UNUSED_PAD src0_sel:WORD_1 src1_sel:DWORD
	;; [unrolled: 1-line block ×6, first 2 shown]
	v_fma_f16 v10, v21, v10, -v35
	v_fma_f16 v21, v21, v34, v36
	v_fma_f16 v12, v22, v12, -v37
	v_fma_f16 v22, v22, v33, v38
	;; [unrolled: 2-line block ×6, first 2 shown]
	v_sub_f16_e32 v12, v8, v12
	v_sub_f16_e32 v22, v27, v22
	;; [unrolled: 1-line block ×8, first 2 shown]
	v_fma_f16 v8, v8, 2.0, -v12
	v_fma_f16 v27, v27, 2.0, -v22
	;; [unrolled: 1-line block ×4, first 2 shown]
	v_sub_f16_e32 v23, v12, v23
	v_add_f16_e32 v14, v22, v14
	v_fma_f16 v9, v9, 2.0, -v13
	v_fma_f16 v28, v28, 2.0, -v25
	;; [unrolled: 1-line block ×4, first 2 shown]
	v_sub_f16_e32 v26, v13, v26
	v_add_f16_e32 v15, v25, v15
	v_sub_f16_e32 v10, v8, v10
	v_sub_f16_e32 v21, v27, v21
	v_fma_f16 v12, v12, 2.0, -v23
	v_fma_f16 v22, v22, 2.0, -v14
	v_sub_f16_e32 v11, v9, v11
	v_sub_f16_e32 v24, v28, v24
	v_fma_f16 v13, v13, 2.0, -v26
	v_fma_f16 v25, v25, 2.0, -v15
	v_pack_b32_f16 v14, v23, v14
	v_pack_b32_f16 v15, v26, v15
	v_fma_f16 v8, v8, 2.0, -v10
	v_fma_f16 v23, v27, 2.0, -v21
	;; [unrolled: 1-line block ×4, first 2 shown]
	v_pack_b32_f16 v12, v12, v22
	v_pack_b32_f16 v13, v13, v25
	;; [unrolled: 1-line block ×6, first 2 shown]
	ds_write2_b32 v16, v12, v13 offset0:99 offset1:143
	ds_write2_b32 v16, v10, v11 offset0:198 offset1:242
	ds_write2_b32 v16, v8, v9 offset1:44
	ds_write2_b32 v20, v14, v15 offset0:41 offset1:85
	s_and_saveexec_b64 s[4:5], s[0:1]
	s_cbranch_execz .LBB0_25
; %bb.24:
	v_add_u32_e32 v8, 0x58, v0
	v_add_u32_e32 v9, -11, v0
	v_cndmask_b32_e64 v8, v9, v8, s[0:1]
	v_mul_i32_i24_e32 v8, 3, v8
	v_mov_b32_e32 v9, 0
	v_lshlrev_b64 v[8:9], 2, v[8:9]
	v_mov_b32_e32 v10, s9
	v_add_co_u32_e64 v8, s[0:1], s8, v8
	v_addc_co_u32_e64 v9, s[0:1], v10, v9, s[0:1]
	global_load_dwordx3 v[8:10], v[8:9], off offset:352
	s_waitcnt vmcnt(0)
	v_mul_f16_sdwa v11, v17, v9 dst_sel:DWORD dst_unused:UNUSED_PAD src0_sel:DWORD src1_sel:WORD_1
	v_mul_f16_sdwa v12, v7, v8 dst_sel:DWORD dst_unused:UNUSED_PAD src0_sel:DWORD src1_sel:WORD_1
	;; [unrolled: 1-line block ×6, first 2 shown]
	v_fma_f16 v4, v4, v9, -v11
	v_fma_f16 v1, v1, v8, v12
	v_fma_f16 v11, v18, v10, v13
	;; [unrolled: 1-line block ×3, first 2 shown]
	v_fma_f16 v7, v7, v8, -v15
	v_fma_f16 v5, v5, v10, -v21
	v_sub_f16_e32 v4, v6, v4
	v_sub_f16_e32 v8, v1, v11
	;; [unrolled: 1-line block ×4, first 2 shown]
	v_add_f16_e32 v11, v9, v5
	v_fma_f16 v6, v6, 2.0, -v4
	v_fma_f16 v5, v7, 2.0, -v5
	;; [unrolled: 1-line block ×4, first 2 shown]
	v_sub_f16_e32 v10, v4, v8
	v_sub_f16_e32 v5, v6, v5
	;; [unrolled: 1-line block ×3, first 2 shown]
	v_fma_f16 v4, v4, 2.0, -v10
	v_fma_f16 v8, v9, 2.0, -v11
	;; [unrolled: 1-line block ×4, first 2 shown]
	v_pack_b32_f16 v4, v4, v8
	v_pack_b32_f16 v1, v5, v1
	v_pack_b32_f16 v5, v6, v7
	v_pack_b32_f16 v9, v10, v11
	ds_write2_b32 v16, v5, v4 offset0:88 offset1:187
	ds_write2_b32 v20, v1, v9 offset0:30 offset1:129
.LBB0_25:
	s_or_b64 exec, exec, s[4:5]
	s_waitcnt lgkmcnt(0)
	; wave barrier
	s_waitcnt lgkmcnt(0)
	s_and_saveexec_b64 s[0:1], vcc
	s_cbranch_execz .LBB0_27
; %bb.26:
	v_lshl_add_u32 v6, v0, 2, 0
	v_mov_b32_e32 v1, 0
	ds_read2_b32 v[4:5], v6 offset1:44
	v_mov_b32_e32 v7, s3
	v_add_co_u32_e32 v8, vcc, s2, v2
	v_addc_co_u32_e32 v7, vcc, v7, v3, vcc
	v_lshlrev_b64 v[2:3], 2, v[0:1]
	v_add_co_u32_e32 v2, vcc, v8, v2
	v_addc_co_u32_e32 v3, vcc, v7, v3, vcc
	s_waitcnt lgkmcnt(0)
	global_store_dword v[2:3], v4, off
	v_add_u32_e32 v2, 44, v0
	v_mov_b32_e32 v3, v1
	v_lshlrev_b64 v[2:3], 2, v[2:3]
	v_add_co_u32_e32 v2, vcc, v8, v2
	v_addc_co_u32_e32 v3, vcc, v7, v3, vcc
	global_store_dword v[2:3], v5, off
	v_add_u32_e32 v2, 0x58, v0
	v_mov_b32_e32 v3, v1
	ds_read2_b32 v[4:5], v6 offset0:88 offset1:132
	v_lshlrev_b64 v[2:3], 2, v[2:3]
	v_add_co_u32_e32 v2, vcc, v8, v2
	v_addc_co_u32_e32 v3, vcc, v7, v3, vcc
	s_waitcnt lgkmcnt(0)
	global_store_dword v[2:3], v4, off
	v_add_u32_e32 v2, 0x84, v0
	v_mov_b32_e32 v3, v1
	v_lshlrev_b64 v[2:3], 2, v[2:3]
	v_add_co_u32_e32 v2, vcc, v8, v2
	v_addc_co_u32_e32 v3, vcc, v7, v3, vcc
	global_store_dword v[2:3], v5, off
	v_add_u32_e32 v2, 0xb0, v0
	v_mov_b32_e32 v3, v1
	ds_read2_b32 v[4:5], v6 offset0:176 offset1:220
	v_lshlrev_b64 v[2:3], 2, v[2:3]
	v_add_co_u32_e32 v2, vcc, v8, v2
	v_addc_co_u32_e32 v3, vcc, v7, v3, vcc
	s_waitcnt lgkmcnt(0)
	global_store_dword v[2:3], v4, off
	v_add_u32_e32 v2, 0xdc, v0
	v_mov_b32_e32 v3, v1
	v_lshlrev_b64 v[2:3], 2, v[2:3]
	v_add_u32_e32 v4, 0x400, v6
	v_add_co_u32_e32 v2, vcc, v8, v2
	v_addc_co_u32_e32 v3, vcc, v7, v3, vcc
	global_store_dword v[2:3], v5, off
	v_add_u32_e32 v2, 0x108, v0
	v_mov_b32_e32 v3, v1
	ds_read2_b32 v[4:5], v4 offset0:8 offset1:52
	v_lshlrev_b64 v[2:3], 2, v[2:3]
	v_add_co_u32_e32 v2, vcc, v8, v2
	v_addc_co_u32_e32 v3, vcc, v7, v3, vcc
	s_waitcnt lgkmcnt(0)
	global_store_dword v[2:3], v4, off
	v_add_u32_e32 v2, 0x134, v0
	v_mov_b32_e32 v3, v1
	v_lshlrev_b64 v[2:3], 2, v[2:3]
	v_add_u32_e32 v0, 0x160, v0
	v_add_co_u32_e32 v2, vcc, v8, v2
	v_addc_co_u32_e32 v3, vcc, v7, v3, vcc
	global_store_dword v[2:3], v5, off
	ds_read_b32 v2, v6 offset:1408
	v_lshlrev_b64 v[0:1], 2, v[0:1]
	v_add_co_u32_e32 v0, vcc, v8, v0
	v_addc_co_u32_e32 v1, vcc, v7, v1, vcc
	s_waitcnt lgkmcnt(0)
	global_store_dword v[0:1], v2, off
.LBB0_27:
	s_endpgm
	.section	.rodata,"a",@progbits
	.p2align	6, 0x0
	.amdhsa_kernel fft_rtc_fwd_len396_factors_11_9_4_wgs_44_tpt_44_half_ip_CI_unitstride_sbrr_C2R_dirReg
		.amdhsa_group_segment_fixed_size 0
		.amdhsa_private_segment_fixed_size 0
		.amdhsa_kernarg_size 88
		.amdhsa_user_sgpr_count 6
		.amdhsa_user_sgpr_private_segment_buffer 1
		.amdhsa_user_sgpr_dispatch_ptr 0
		.amdhsa_user_sgpr_queue_ptr 0
		.amdhsa_user_sgpr_kernarg_segment_ptr 1
		.amdhsa_user_sgpr_dispatch_id 0
		.amdhsa_user_sgpr_flat_scratch_init 0
		.amdhsa_user_sgpr_private_segment_size 0
		.amdhsa_uses_dynamic_stack 0
		.amdhsa_system_sgpr_private_segment_wavefront_offset 0
		.amdhsa_system_sgpr_workgroup_id_x 1
		.amdhsa_system_sgpr_workgroup_id_y 0
		.amdhsa_system_sgpr_workgroup_id_z 0
		.amdhsa_system_sgpr_workgroup_info 0
		.amdhsa_system_vgpr_workitem_id 0
		.amdhsa_next_free_vgpr 80
		.amdhsa_next_free_sgpr 22
		.amdhsa_reserve_vcc 1
		.amdhsa_reserve_flat_scratch 0
		.amdhsa_float_round_mode_32 0
		.amdhsa_float_round_mode_16_64 0
		.amdhsa_float_denorm_mode_32 3
		.amdhsa_float_denorm_mode_16_64 3
		.amdhsa_dx10_clamp 1
		.amdhsa_ieee_mode 1
		.amdhsa_fp16_overflow 0
		.amdhsa_exception_fp_ieee_invalid_op 0
		.amdhsa_exception_fp_denorm_src 0
		.amdhsa_exception_fp_ieee_div_zero 0
		.amdhsa_exception_fp_ieee_overflow 0
		.amdhsa_exception_fp_ieee_underflow 0
		.amdhsa_exception_fp_ieee_inexact 0
		.amdhsa_exception_int_div_zero 0
	.end_amdhsa_kernel
	.text
.Lfunc_end0:
	.size	fft_rtc_fwd_len396_factors_11_9_4_wgs_44_tpt_44_half_ip_CI_unitstride_sbrr_C2R_dirReg, .Lfunc_end0-fft_rtc_fwd_len396_factors_11_9_4_wgs_44_tpt_44_half_ip_CI_unitstride_sbrr_C2R_dirReg
                                        ; -- End function
	.section	.AMDGPU.csdata,"",@progbits
; Kernel info:
; codeLenInByte = 7252
; NumSgprs: 26
; NumVgprs: 80
; ScratchSize: 0
; MemoryBound: 0
; FloatMode: 240
; IeeeMode: 1
; LDSByteSize: 0 bytes/workgroup (compile time only)
; SGPRBlocks: 3
; VGPRBlocks: 19
; NumSGPRsForWavesPerEU: 26
; NumVGPRsForWavesPerEU: 80
; Occupancy: 3
; WaveLimiterHint : 1
; COMPUTE_PGM_RSRC2:SCRATCH_EN: 0
; COMPUTE_PGM_RSRC2:USER_SGPR: 6
; COMPUTE_PGM_RSRC2:TRAP_HANDLER: 0
; COMPUTE_PGM_RSRC2:TGID_X_EN: 1
; COMPUTE_PGM_RSRC2:TGID_Y_EN: 0
; COMPUTE_PGM_RSRC2:TGID_Z_EN: 0
; COMPUTE_PGM_RSRC2:TIDIG_COMP_CNT: 0
	.type	__hip_cuid_f8909c8443dd5428,@object ; @__hip_cuid_f8909c8443dd5428
	.section	.bss,"aw",@nobits
	.globl	__hip_cuid_f8909c8443dd5428
__hip_cuid_f8909c8443dd5428:
	.byte	0                               ; 0x0
	.size	__hip_cuid_f8909c8443dd5428, 1

	.ident	"AMD clang version 19.0.0git (https://github.com/RadeonOpenCompute/llvm-project roc-6.4.0 25133 c7fe45cf4b819c5991fe208aaa96edf142730f1d)"
	.section	".note.GNU-stack","",@progbits
	.addrsig
	.addrsig_sym __hip_cuid_f8909c8443dd5428
	.amdgpu_metadata
---
amdhsa.kernels:
  - .args:
      - .actual_access:  read_only
        .address_space:  global
        .offset:         0
        .size:           8
        .value_kind:     global_buffer
      - .offset:         8
        .size:           8
        .value_kind:     by_value
      - .actual_access:  read_only
        .address_space:  global
        .offset:         16
        .size:           8
        .value_kind:     global_buffer
      - .actual_access:  read_only
        .address_space:  global
        .offset:         24
        .size:           8
        .value_kind:     global_buffer
      - .offset:         32
        .size:           8
        .value_kind:     by_value
      - .actual_access:  read_only
        .address_space:  global
        .offset:         40
        .size:           8
        .value_kind:     global_buffer
      - .actual_access:  read_only
        .address_space:  global
        .offset:         48
        .size:           8
        .value_kind:     global_buffer
      - .offset:         56
        .size:           4
        .value_kind:     by_value
      - .actual_access:  read_only
        .address_space:  global
        .offset:         64
        .size:           8
        .value_kind:     global_buffer
      - .actual_access:  read_only
        .address_space:  global
        .offset:         72
        .size:           8
        .value_kind:     global_buffer
      - .address_space:  global
        .offset:         80
        .size:           8
        .value_kind:     global_buffer
    .group_segment_fixed_size: 0
    .kernarg_segment_align: 8
    .kernarg_segment_size: 88
    .language:       OpenCL C
    .language_version:
      - 2
      - 0
    .max_flat_workgroup_size: 44
    .name:           fft_rtc_fwd_len396_factors_11_9_4_wgs_44_tpt_44_half_ip_CI_unitstride_sbrr_C2R_dirReg
    .private_segment_fixed_size: 0
    .sgpr_count:     26
    .sgpr_spill_count: 0
    .symbol:         fft_rtc_fwd_len396_factors_11_9_4_wgs_44_tpt_44_half_ip_CI_unitstride_sbrr_C2R_dirReg.kd
    .uniform_work_group_size: 1
    .uses_dynamic_stack: false
    .vgpr_count:     80
    .vgpr_spill_count: 0
    .wavefront_size: 64
amdhsa.target:   amdgcn-amd-amdhsa--gfx906
amdhsa.version:
  - 1
  - 2
...

	.end_amdgpu_metadata
